;; amdgpu-corpus repo=zjin-lcf/HeCBench kind=compiled arch=gfx906 opt=O3
	.amdgcn_target "amdgcn-amd-amdhsa--gfx906"
	.amdhsa_code_object_version 6
	.text
	.protected	_Z9stencil3dPKdPdS0_S0_S0_iii ; -- Begin function _Z9stencil3dPKdPdS0_S0_S0_iii
	.globl	_Z9stencil3dPKdPdS0_S0_S0_iii
	.p2align	8
	.type	_Z9stencil3dPKdPdS0_S0_S0_iii,@function
_Z9stencil3dPKdPdS0_S0_S0_iii:          ; @_Z9stencil3dPKdPdS0_S0_S0_iii
; %bb.0:
	s_load_dwordx2 s[10:11], s[4:5], 0x38
	s_load_dwordx4 s[12:15], s[4:5], 0x28
	s_load_dword s0, s[4:5], 0x40
	s_mul_i32 s2, s7, -14
	s_waitcnt lgkmcnt(0)
	s_add_i32 s1, s11, -1
	s_add_i32 s2, s2, s13
	s_add_i32 s2, s2, -1
	s_cmp_eq_u32 s7, s1
	s_mul_i32 s1, s8, -14
	s_cselect_b32 s21, s2, 15
	s_add_i32 s1, s1, s14
	s_add_i32 s0, s0, -1
	s_add_i32 s1, s1, -1
	s_cmp_eq_u32 s8, s0
	s_cselect_b32 s22, s1, 15
	v_cmp_ge_i32_e32 vcc, s21, v1
	v_cmp_ge_i32_e64 s[0:1], s22, v0
	s_and_b64 s[0:1], vcc, s[0:1]
	s_and_saveexec_b64 s[2:3], s[0:1]
	s_cbranch_execz .LBB0_18
; %bb.1:
	s_mul_i32 s9, s6, s13
	s_mul_i32 s7, s7, 14
	;; [unrolled: 1-line block ×3, first 2 shown]
	v_mad_u64_u32 v[2:3], s[16:17], s14, v1, v[0:1]
	s_load_dwordx2 s[0:1], s[4:5], 0x0
	s_load_dwordx2 s[2:3], s[4:5], 0x10
	s_add_i32 s7, s9, s7
	v_add_u32_e32 v4, s13, v1
	s_mul_i32 s8, s8, 14
	s_mul_i32 s7, s7, s14
	v_mul_lo_u32 v16, s14, v4
	s_add_i32 s8, s7, s8
	s_mov_b32 s9, 0
	s_lshl_b64 s[16:17], s[8:9], 3
	v_ashrrev_i32_e32 v3, 31, v2
	s_waitcnt lgkmcnt(0)
	s_add_u32 s11, s0, s16
	v_lshlrev_b64 v[2:3], 3, v[2:3]
	s_addc_u32 s26, s1, s17
	v_add_u32_e32 v6, v16, v0
	v_mov_b32_e32 v5, s26
	v_add_co_u32_e32 v4, vcc, s11, v2
	v_ashrrev_i32_e32 v7, 31, v6
	v_addc_co_u32_e32 v5, vcc, v5, v3, vcc
	v_lshlrev_b64 v[2:3], 3, v[6:7]
	v_mov_b32_e32 v8, s26
	v_add_co_u32_e32 v7, vcc, s11, v2
	v_addc_co_u32_e32 v8, vcc, v8, v3, vcc
	global_load_dwordx2 v[9:10], v[4:5], off
	global_load_dwordx2 v[11:12], v[7:8], off
	v_lshlrev_b32_e32 v17, 7, v1
	v_mov_b32_e32 v7, 0
	s_add_u32 s15, s2, s16
	v_mov_b32_e32 v8, 0
	v_lshl_add_u32 v18, v0, 3, v17
	s_addc_u32 s20, s3, s17
	v_cmp_ne_u32_e32 vcc, 0, v0
	s_waitcnt vmcnt(0)
	ds_write2st64_b64 v18, v[9:10], v[11:12] offset0:4 offset1:8
	s_waitcnt lgkmcnt(0)
	s_barrier
	s_and_saveexec_b64 s[18:19], vcc
	s_cbranch_execz .LBB0_5
; %bb.2:
	v_cmp_gt_u32_e64 s[0:1], s22, v0
	v_cmp_gt_u32_e64 s[8:9], s21, v1
	v_cmp_ne_u32_e64 s[2:3], 0, v1
	s_and_b64 s[0:1], s[0:1], s[8:9]
	v_mov_b32_e32 v7, 0
	v_mov_b32_e32 v8, 0
	s_and_b64 s[0:1], s[0:1], s[2:3]
	s_and_saveexec_b64 s[2:3], s[0:1]
	s_cbranch_execz .LBB0_4
; %bb.3:
	s_add_i32 s0, s12, 1
	s_mul_i32 s0, s13, s0
	v_add_u32_e32 v4, s0, v1
	v_mad_u64_u32 v[4:5], s[0:1], v4, s14, v[0:1]
	v_mov_b32_e32 v8, s20
	v_mov_b32_e32 v7, s20
	v_ashrrev_i32_e32 v5, 31, v4
	v_lshlrev_b64 v[4:5], 3, v[4:5]
	v_add_u32_e32 v11, 0x1000, v18
	v_add_co_u32_e64 v4, s[0:1], s15, v4
	v_addc_co_u32_e64 v5, s[0:1], v8, v5, s[0:1]
	s_lshl_b32 s0, s12, 1
	s_or_b32 s0, s0, 1
	s_mul_i32 s0, s0, s13
	global_load_dwordx2 v[23:24], v[4:5], off
	v_add_u32_e32 v4, s0, v1
	v_mad_u64_u32 v[4:5], s[0:1], v4, s14, v[0:1]
	v_add_co_u32_e64 v2, s[0:1], s15, v2
	v_ashrrev_i32_e32 v5, 31, v4
	v_lshlrev_b64 v[4:5], 3, v[4:5]
	v_addc_co_u32_e64 v3, s[0:1], v7, v3, s[0:1]
	v_add_co_u32_e64 v4, s[0:1], s15, v4
	v_addc_co_u32_e64 v5, s[0:1], v7, v5, s[0:1]
	global_load_dwordx2 v[25:26], v[4:5], off
	global_load_dwordx2 v[27:28], v[2:3], off
	v_add_u32_e32 v2, 0x400, v18
	v_add_u32_e32 v7, 0x800, v18
	ds_read2_b64 v[2:5], v2 offset0:112 offset1:129
	ds_read2_b64 v[7:10], v7 offset0:16 offset1:240
	;; [unrolled: 1-line block ×3, first 2 shown]
	v_add_u32_e32 v15, 0xff8, v18
	ds_read2_b64 v[19:22], v15 offset1:1
	s_waitcnt lgkmcnt(2)
	v_add_f64 v[2:3], v[7:8], -v[2:3]
	v_add_u32_e32 v7, 0x7f8, v18
	v_add_f64 v[2:3], v[2:3], -v[9:10]
	ds_read2_b64 v[7:10], v7 offset1:1
	s_waitcnt lgkmcnt(0)
	v_add_f64 v[4:5], v[4:5], -v[7:8]
	v_add_f64 v[7:8], v[21:22], -v[9:10]
	v_add_f64 v[2:3], v[2:3], v[13:14]
	v_add_f64 v[4:5], v[4:5], -v[19:20]
	v_ldexp_f64 v[2:3], v[2:3], -2
	v_add_f64 v[4:5], v[4:5], v[11:12]
	v_ldexp_f64 v[4:5], v[4:5], -2
	s_waitcnt vmcnt(2)
	v_mul_f64 v[2:3], v[2:3], v[23:24]
	s_waitcnt vmcnt(0)
	v_fma_f64 v[2:3], v[7:8], v[27:28], v[2:3]
	v_fma_f64 v[2:3], v[4:5], v[25:26], v[2:3]
	v_add_f64 v[7:8], -v[2:3], 0
.LBB0_4:
	s_or_b64 exec, exec, s[2:3]
.LBB0_5:
	s_or_b64 exec, exec, s[18:19]
	s_mul_i32 s1, s6, 0xffffffec
	s_add_i32 s1, s1, s12
	s_add_i32 s0, s10, -1
	s_add_i32 s1, s1, -1
	s_cmp_eq_u32 s6, s0
	s_cselect_b32 s8, s1, 21
	s_cmp_lt_i32 s8, 2
	s_mov_b32 s10, 2
	s_cbranch_scc1 .LBB0_18
; %bb.6:
	s_load_dwordx2 s[6:7], s[4:5], 0x8
	s_load_dwordx4 s[28:31], s[4:5], 0x18
	v_cmp_gt_u32_e64 s[2:3], s21, v1
	v_cmp_gt_u32_e64 s[0:1], s22, v0
	v_mov_b32_e32 v2, v1
	s_waitcnt lgkmcnt(0)
	s_add_u32 s18, s6, s16
	s_addc_u32 s19, s7, s17
	s_add_u32 s21, s28, s16
	s_addc_u32 s22, s29, s17
	;; [unrolled: 2-line block ×3, first 2 shown]
	s_lshl_b32 s27, s12, 1
	s_or_b32 s9, s27, 1
	s_mul_i32 s9, s13, s9
	v_add_u32_e32 v3, s9, v2
	s_add_i32 s9, s12, 1
	s_mul_i32 s9, s13, s9
	s_add_i32 s27, s27, 2
	v_mul_lo_u32 v19, s14, v3
	v_add_u32_e32 v3, s9, v2
	s_add_i32 s25, s8, -1
	s_mul_i32 s8, s13, s27
	s_and_b64 s[4:5], vcc, s[0:1]
	v_mul_lo_u32 v20, s14, v3
	v_add_u32_e32 v3, s8, v2
	s_add_i32 s8, s12, 2
	s_and_b64 s[6:7], s[2:3], s[4:5]
	v_cmp_ne_u32_e64 s[4:5], 0, v1
	v_ashrrev_i32_e32 v1, 31, v0
	s_mul_i32 s8, s13, s8
	v_mad_u64_u32 v[9:10], s[28:29], s14, v3, v[0:1]
	v_add_u32_e32 v3, s8, v2
	v_mad_u64_u32 v[10:11], s[28:29], s14, v3, v[0:1]
	v_lshl_add_u32 v2, s13, 1, v2
	s_mul_i32 s24, s14, s13
	v_mad_u64_u32 v[11:12], s[12:13], s14, v2, v[0:1]
	s_and_b64 s[4:5], s[4:5], s[0:1]
	s_and_b64 s[0:1], s[2:3], s[4:5]
	s_and_b64 s[4:5], vcc, s[4:5]
	s_mov_b32 s23, 0
	s_and_b64 s[2:3], s[2:3], s[4:5]
	s_and_b64 s[4:5], vcc, s[0:1]
	s_mov_b32 s9, 1
	v_add3_u32 v21, v19, s14, v0
	v_add3_u32 v22, v20, s14, v0
	;; [unrolled: 1-line block ×3, first 2 shown]
	v_mov_b32_e32 v24, s26
	s_movk_i32 s12, 0xff80
	v_lshlrev_b32_e32 v25, 3, v0
	s_mov_b32 s13, 0
	s_branch .LBB0_8
.LBB0_7:                                ;   in Loop: Header=BB0_8 Depth=1
	s_or_b64 exec, exec, s[8:9]
	s_add_i32 s23, s23, s24
	s_add_i32 s25, s25, -1
	s_cmp_lg_u32 s25, 0
	s_mov_b32 s9, s10
	s_mov_b32 s10, s13
	;; [unrolled: 1-line block ×3, first 2 shown]
	s_waitcnt vmcnt(0)
	s_barrier
	s_cbranch_scc0 .LBB0_18
.LBB0_8:                                ; =>This Inner Loop Header: Depth=1
	v_add_u32_e32 v2, s23, v11
	v_ashrrev_i32_e32 v3, 31, v2
	v_lshlrev_b64 v[12:13], 3, v[2:3]
	s_mov_b32 s14, s9
	v_add_co_u32_e32 v2, vcc, s11, v12
	v_addc_co_u32_e32 v3, vcc, v24, v13, vcc
	global_load_dwordx2 v[2:3], v[2:3], off
	v_lshl_add_u32 v27, s13, 11, v17
	v_lshl_add_u32 v26, v0, 3, v27
	;; [unrolled: 1-line block ×3, first 2 shown]
	s_waitcnt vmcnt(0)
	ds_write_b64 v26, v[2:3]
	s_waitcnt lgkmcnt(0)
	s_barrier
	s_and_saveexec_b64 s[8:9], s[6:7]
	s_cbranch_execz .LBB0_10
; %bb.9:                                ;   in Loop: Header=BB0_8 Depth=1
	v_lshl_add_u32 v39, s10, 11, v18
	v_add_u32_e32 v2, -8, v39
	ds_read2_b64 v[29:32], v2 offset1:1
	ds_read2_b64 v[2:5], v39 offset0:1 offset1:17
	ds_read2_b64 v[33:36], v28 offset1:16
	s_waitcnt lgkmcnt(1)
	v_add_f64 v[14:15], v[2:3], -v[29:30]
	s_waitcnt lgkmcnt(0)
	v_add_f64 v[37:38], -v[33:34], -v[35:36]
	ds_read2_b64 v[33:36], v39 offset0:15 offset1:16
	s_waitcnt lgkmcnt(0)
	v_add_f64 v[2:3], v[35:36], -v[31:32]
	ds_read2_b64 v[29:32], v26 offset1:16
	v_add_f64 v[14:15], v[14:15], -v[33:34]
	v_add_u32_e32 v33, s23, v23
	v_ashrrev_i32_e32 v34, 31, v33
	v_mov_b32_e32 v35, s22
	s_waitcnt lgkmcnt(0)
	v_add_f64 v[29:30], v[37:38], v[29:30]
	v_add_u32_e32 v36, s23, v21
	v_ashrrev_i32_e32 v37, 31, v36
	v_lshlrev_b64 v[36:37], 3, v[36:37]
	v_add_f64 v[4:5], v[14:15], v[4:5]
	v_add_f64 v[29:30], v[29:30], v[31:32]
	v_lshlrev_b64 v[32:33], 3, v[33:34]
	v_add_u32_e32 v31, s23, v22
	v_add_co_u32_e32 v34, vcc, s21, v32
	v_ashrrev_i32_e32 v32, 31, v31
	v_lshlrev_b64 v[31:32], 3, v[31:32]
	v_addc_co_u32_e32 v35, vcc, v35, v33, vcc
	v_add_co_u32_e32 v31, vcc, s21, v31
	v_mov_b32_e32 v33, s22
	v_addc_co_u32_e32 v32, vcc, v33, v32, vcc
	v_add_co_u32_e32 v36, vcc, s21, v36
	v_addc_co_u32_e32 v37, vcc, v33, v37, vcc
	global_load_dwordx2 v[31:32], v[31:32], off
	s_nop 0
	global_load_dwordx2 v[33:34], v[34:35], off
	s_nop 0
	global_load_dwordx2 v[35:36], v[36:37], off
	v_ldexp_f64 v[29:30], v[29:30], -2
	v_ldexp_f64 v[4:5], v[4:5], -2
	s_waitcnt vmcnt(2)
	v_mul_f64 v[2:3], v[2:3], v[31:32]
	s_waitcnt vmcnt(1)
	v_fma_f64 v[2:3], v[29:30], v[33:34], v[2:3]
	s_waitcnt vmcnt(0)
	v_fma_f64 v[2:3], v[4:5], v[35:36], v[2:3]
	v_add_f64 v[7:8], v[7:8], v[2:3]
	ds_write_b64 v18, v[2:3] offset:6144
.LBB0_10:                               ;   in Loop: Header=BB0_8 Depth=1
	s_or_b64 exec, exec, s[8:9]
	s_waitcnt lgkmcnt(0)
	s_barrier
	s_and_saveexec_b64 s[8:9], s[4:5]
	s_cbranch_execz .LBB0_12
; %bb.11:                               ;   in Loop: Header=BB0_8 Depth=1
	ds_read_b64 v[2:3], v18 offset:6016
	s_waitcnt lgkmcnt(0)
	v_add_f64 v[7:8], v[7:8], -v[2:3]
.LBB0_12:                               ;   in Loop: Header=BB0_8 Depth=1
	s_or_b64 exec, exec, s[8:9]
	s_barrier
	s_and_saveexec_b64 s[8:9], s[0:1]
	s_cbranch_execz .LBB0_14
; %bb.13:                               ;   in Loop: Header=BB0_8 Depth=1
	ds_read2_b64 v[2:5], v28 offset1:1
	s_lshl_b32 s26, s10, 11
	v_add3_u32 v30, v17, s26, v25
	v_mov_b32_e32 v32, s17
	s_waitcnt lgkmcnt(0)
	v_add_f64 v[14:15], -v[2:3], -v[4:5]
	ds_read2_b64 v[2:5], v26 offset1:1
	s_waitcnt lgkmcnt(0)
	v_add_f64 v[2:3], v[14:15], v[2:3]
	v_add_f64 v[2:3], v[2:3], v[4:5]
	v_ldexp_f64 v[14:15], v[2:3], -2
	v_add_u32_e32 v2, 0xffffff80, v30
	ds_read2_b64 v[2:5], v2 offset1:1
	s_waitcnt lgkmcnt(0)
	v_add_f64 v[28:29], -v[2:3], -v[4:5]
	ds_read2_b64 v[2:5], v30 offset0:16 offset1:17
	s_waitcnt lgkmcnt(0)
	v_add_f64 v[2:3], v[28:29], v[2:3]
	v_add_f64 v[2:3], v[2:3], v[4:5]
	v_ldexp_f64 v[28:29], v[2:3], -2
	ds_read2_b64 v[2:5], v30 offset1:1
	v_mov_b32_e32 v30, s17
	s_waitcnt lgkmcnt(0)
	v_add_f64 v[2:3], v[4:5], -v[2:3]
	v_add_u32_e32 v4, s23, v16
	v_ashrrev_i32_e32 v5, 31, v4
	v_add_co_u32_e32 v4, vcc, v4, v0
	v_addc_co_u32_e32 v5, vcc, v5, v1, vcc
	v_lshlrev_b64 v[4:5], 3, v[4:5]
	v_add_co_u32_e32 v4, vcc, s16, v4
	v_addc_co_u32_e32 v5, vcc, v30, v5, vcc
	v_add_u32_e32 v30, s23, v20
	v_ashrrev_i32_e32 v31, 31, v30
	v_add_co_u32_e32 v30, vcc, v30, v0
	v_addc_co_u32_e32 v31, vcc, v31, v1, vcc
	v_lshlrev_b64 v[30:31], 3, v[30:31]
	global_load_dwordx2 v[4:5], v[4:5], off offset:8
	v_add_co_u32_e32 v30, vcc, s16, v30
	v_addc_co_u32_e32 v31, vcc, v32, v31, vcc
	global_load_dwordx2 v[30:31], v[30:31], off offset:8
	s_waitcnt vmcnt(0)
	v_mul_f64 v[28:29], v[28:29], v[30:31]
	v_fma_f64 v[4:5], v[14:15], v[4:5], v[28:29]
	v_add_u32_e32 v14, s23, v19
	v_ashrrev_i32_e32 v15, 31, v14
	v_add_co_u32_e32 v14, vcc, v14, v0
	v_addc_co_u32_e32 v15, vcc, v15, v1, vcc
	v_lshlrev_b64 v[14:15], 3, v[14:15]
	v_mov_b32_e32 v28, s17
	v_add_co_u32_e32 v14, vcc, s16, v14
	v_addc_co_u32_e32 v15, vcc, v28, v15, vcc
	global_load_dwordx2 v[14:15], v[14:15], off offset:8
	s_waitcnt vmcnt(0)
	v_fma_f64 v[2:3], v[2:3], v[14:15], v[4:5]
	v_add_f64 v[7:8], v[7:8], v[2:3]
	ds_write_b64 v18, v[2:3] offset:6144
.LBB0_14:                               ;   in Loop: Header=BB0_8 Depth=1
	s_or_b64 exec, exec, s[8:9]
	s_waitcnt lgkmcnt(0)
	s_barrier
	s_and_saveexec_b64 s[8:9], s[2:3]
	s_cbranch_execz .LBB0_16
; %bb.15:                               ;   in Loop: Header=BB0_8 Depth=1
	ds_read_b64 v[2:3], v18 offset:6136
	s_waitcnt lgkmcnt(0)
	v_add_f64 v[7:8], v[7:8], -v[2:3]
.LBB0_16:                               ;   in Loop: Header=BB0_8 Depth=1
	s_or_b64 exec, exec, s[8:9]
	s_barrier
	s_and_saveexec_b64 s[8:9], s[2:3]
	s_cbranch_execz .LBB0_7
; %bb.17:                               ;   in Loop: Header=BB0_8 Depth=1
	s_lshl_b32 s26, s10, 11
	v_add3_u32 v32, v17, s26, v25
	v_add_u32_e32 v2, -8, v32
	v_add_u32_e32 v14, -8, v26
	ds_read2_b64 v[2:5], v2 offset1:1
	ds_read2_b64 v[28:31], v14 offset1:1
	v_add_u32_e32 v14, 0xffffff80, v32
	v_add3_u32 v27, v27, v25, s12
	v_add_co_u32_e32 v12, vcc, s15, v12
	s_waitcnt lgkmcnt(0)
	v_add_f64 v[4:5], v[30:31], -v[4:5]
	ds_read_b64 v[14:15], v14
	ds_read2_b64 v[30:33], v32 offset0:1 offset1:16
	s_waitcnt lgkmcnt(0)
	v_add_f64 v[14:15], v[32:33], -v[14:15]
	ds_read_b64 v[32:33], v27
	v_add_f64 v[2:3], v[30:31], -v[2:3]
	s_waitcnt lgkmcnt(0)
	v_add_f64 v[14:15], v[14:15], -v[32:33]
	ds_read2_b64 v[32:35], v26 offset0:1 offset1:16
	v_mov_b32_e32 v26, s20
	v_addc_co_u32_e32 v13, vcc, v26, v13, vcc
	v_add_u32_e32 v26, s23, v10
	v_ashrrev_i32_e32 v27, 31, v26
	v_lshlrev_b64 v[26:27], 3, v[26:27]
	v_add_f64 v[2:3], v[2:3], -v[28:29]
	v_add_co_u32_e32 v26, vcc, s15, v26
	v_mov_b32_e32 v28, s20
	v_addc_co_u32_e32 v27, vcc, v28, v27, vcc
	global_load_dwordx2 v[12:13], v[12:13], off
	s_waitcnt lgkmcnt(0)
	v_add_f64 v[14:15], v[14:15], v[34:35]
	global_load_dwordx2 v[26:27], v[26:27], off
	v_add_f64 v[2:3], v[2:3], v[32:33]
	v_ldexp_f64 v[14:15], v[14:15], -2
	v_ldexp_f64 v[2:3], v[2:3], -2
	s_waitcnt vmcnt(0)
	v_mul_f64 v[14:15], v[14:15], v[26:27]
	v_fma_f64 v[4:5], v[4:5], v[12:13], v[14:15]
	v_add_u32_e32 v12, s23, v9
	v_ashrrev_i32_e32 v13, 31, v12
	v_lshlrev_b64 v[12:13], 3, v[12:13]
	v_mov_b32_e32 v14, s20
	v_add_co_u32_e32 v12, vcc, s15, v12
	v_addc_co_u32_e32 v13, vcc, v14, v13, vcc
	global_load_dwordx2 v[12:13], v[12:13], off
	s_waitcnt vmcnt(0)
	v_fma_f64 v[2:3], v[2:3], v[12:13], v[4:5]
	v_mov_b32_e32 v12, s19
	v_add_f64 v[4:5], v[7:8], v[2:3]
	v_add_u32_e32 v7, s23, v6
	v_ashrrev_i32_e32 v8, 31, v7
	v_lshlrev_b64 v[7:8], 3, v[7:8]
	v_xor_b32_e32 v3, 0x80000000, v3
	v_add_co_u32_e32 v7, vcc, s18, v7
	v_addc_co_u32_e32 v8, vcc, v12, v8, vcc
	global_store_dwordx2 v[7:8], v[4:5], off
	v_mov_b32_e32 v8, v3
	v_mov_b32_e32 v7, v2
	s_branch .LBB0_7
.LBB0_18:
	s_endpgm
	.section	.rodata,"a",@progbits
	.p2align	6, 0x0
	.amdhsa_kernel _Z9stencil3dPKdPdS0_S0_S0_iii
		.amdhsa_group_segment_fixed_size 8192
		.amdhsa_private_segment_fixed_size 0
		.amdhsa_kernarg_size 312
		.amdhsa_user_sgpr_count 6
		.amdhsa_user_sgpr_private_segment_buffer 1
		.amdhsa_user_sgpr_dispatch_ptr 0
		.amdhsa_user_sgpr_queue_ptr 0
		.amdhsa_user_sgpr_kernarg_segment_ptr 1
		.amdhsa_user_sgpr_dispatch_id 0
		.amdhsa_user_sgpr_flat_scratch_init 0
		.amdhsa_user_sgpr_private_segment_size 0
		.amdhsa_uses_dynamic_stack 0
		.amdhsa_system_sgpr_private_segment_wavefront_offset 0
		.amdhsa_system_sgpr_workgroup_id_x 1
		.amdhsa_system_sgpr_workgroup_id_y 1
		.amdhsa_system_sgpr_workgroup_id_z 1
		.amdhsa_system_sgpr_workgroup_info 0
		.amdhsa_system_vgpr_workitem_id 1
		.amdhsa_next_free_vgpr 40
		.amdhsa_next_free_sgpr 61
		.amdhsa_reserve_vcc 1
		.amdhsa_reserve_flat_scratch 0
		.amdhsa_float_round_mode_32 0
		.amdhsa_float_round_mode_16_64 0
		.amdhsa_float_denorm_mode_32 3
		.amdhsa_float_denorm_mode_16_64 3
		.amdhsa_dx10_clamp 1
		.amdhsa_ieee_mode 1
		.amdhsa_fp16_overflow 0
		.amdhsa_exception_fp_ieee_invalid_op 0
		.amdhsa_exception_fp_denorm_src 0
		.amdhsa_exception_fp_ieee_div_zero 0
		.amdhsa_exception_fp_ieee_overflow 0
		.amdhsa_exception_fp_ieee_underflow 0
		.amdhsa_exception_fp_ieee_inexact 0
		.amdhsa_exception_int_div_zero 0
	.end_amdhsa_kernel
	.text
.Lfunc_end0:
	.size	_Z9stencil3dPKdPdS0_S0_S0_iii, .Lfunc_end0-_Z9stencil3dPKdPdS0_S0_S0_iii
                                        ; -- End function
	.set _Z9stencil3dPKdPdS0_S0_S0_iii.num_vgpr, 40
	.set _Z9stencil3dPKdPdS0_S0_S0_iii.num_agpr, 0
	.set _Z9stencil3dPKdPdS0_S0_S0_iii.numbered_sgpr, 32
	.set _Z9stencil3dPKdPdS0_S0_S0_iii.num_named_barrier, 0
	.set _Z9stencil3dPKdPdS0_S0_S0_iii.private_seg_size, 0
	.set _Z9stencil3dPKdPdS0_S0_S0_iii.uses_vcc, 1
	.set _Z9stencil3dPKdPdS0_S0_S0_iii.uses_flat_scratch, 0
	.set _Z9stencil3dPKdPdS0_S0_S0_iii.has_dyn_sized_stack, 0
	.set _Z9stencil3dPKdPdS0_S0_S0_iii.has_recursion, 0
	.set _Z9stencil3dPKdPdS0_S0_S0_iii.has_indirect_call, 0
	.section	.AMDGPU.csdata,"",@progbits
; Kernel info:
; codeLenInByte = 2260
; TotalNumSgprs: 36
; NumVgprs: 40
; ScratchSize: 0
; MemoryBound: 0
; FloatMode: 240
; IeeeMode: 1
; LDSByteSize: 8192 bytes/workgroup (compile time only)
; SGPRBlocks: 8
; VGPRBlocks: 9
; NumSGPRsForWavesPerEU: 65
; NumVGPRsForWavesPerEU: 40
; Occupancy: 6
; WaveLimiterHint : 0
; COMPUTE_PGM_RSRC2:SCRATCH_EN: 0
; COMPUTE_PGM_RSRC2:USER_SGPR: 6
; COMPUTE_PGM_RSRC2:TRAP_HANDLER: 0
; COMPUTE_PGM_RSRC2:TGID_X_EN: 1
; COMPUTE_PGM_RSRC2:TGID_Y_EN: 1
; COMPUTE_PGM_RSRC2:TGID_Z_EN: 1
; COMPUTE_PGM_RSRC2:TIDIG_COMP_CNT: 1
	.section	.AMDGPU.gpr_maximums,"",@progbits
	.set amdgpu.max_num_vgpr, 0
	.set amdgpu.max_num_agpr, 0
	.set amdgpu.max_num_sgpr, 0
	.section	.AMDGPU.csdata,"",@progbits
	.type	__hip_cuid_ce0caca06e198669,@object ; @__hip_cuid_ce0caca06e198669
	.section	.bss,"aw",@nobits
	.globl	__hip_cuid_ce0caca06e198669
__hip_cuid_ce0caca06e198669:
	.byte	0                               ; 0x0
	.size	__hip_cuid_ce0caca06e198669, 1

	.ident	"AMD clang version 22.0.0git (https://github.com/RadeonOpenCompute/llvm-project roc-7.2.4 26084 f58b06dce1f9c15707c5f808fd002e18c2accf7e)"
	.section	".note.GNU-stack","",@progbits
	.addrsig
	.addrsig_sym __hip_cuid_ce0caca06e198669
	.amdgpu_metadata
---
amdhsa.kernels:
  - .args:
      - .actual_access:  read_only
        .address_space:  global
        .offset:         0
        .size:           8
        .value_kind:     global_buffer
      - .actual_access:  write_only
        .address_space:  global
        .offset:         8
        .size:           8
        .value_kind:     global_buffer
      - .actual_access:  read_only
        .address_space:  global
        .offset:         16
        .size:           8
        .value_kind:     global_buffer
      - .actual_access:  read_only
        .address_space:  global
        .offset:         24
        .size:           8
        .value_kind:     global_buffer
      - .actual_access:  read_only
        .address_space:  global
        .offset:         32
        .size:           8
        .value_kind:     global_buffer
      - .offset:         40
        .size:           4
        .value_kind:     by_value
      - .offset:         44
        .size:           4
        .value_kind:     by_value
      - .offset:         48
        .size:           4
        .value_kind:     by_value
      - .offset:         56
        .size:           4
        .value_kind:     hidden_block_count_x
      - .offset:         60
        .size:           4
        .value_kind:     hidden_block_count_y
      - .offset:         64
        .size:           4
        .value_kind:     hidden_block_count_z
      - .offset:         68
        .size:           2
        .value_kind:     hidden_group_size_x
      - .offset:         70
        .size:           2
        .value_kind:     hidden_group_size_y
      - .offset:         72
        .size:           2
        .value_kind:     hidden_group_size_z
      - .offset:         74
        .size:           2
        .value_kind:     hidden_remainder_x
      - .offset:         76
        .size:           2
        .value_kind:     hidden_remainder_y
      - .offset:         78
        .size:           2
        .value_kind:     hidden_remainder_z
      - .offset:         96
        .size:           8
        .value_kind:     hidden_global_offset_x
      - .offset:         104
        .size:           8
        .value_kind:     hidden_global_offset_y
      - .offset:         112
        .size:           8
        .value_kind:     hidden_global_offset_z
      - .offset:         120
        .size:           2
        .value_kind:     hidden_grid_dims
    .group_segment_fixed_size: 8192
    .kernarg_segment_align: 8
    .kernarg_segment_size: 312
    .language:       OpenCL C
    .language_version:
      - 2
      - 0
    .max_flat_workgroup_size: 1024
    .name:           _Z9stencil3dPKdPdS0_S0_S0_iii
    .private_segment_fixed_size: 0
    .sgpr_count:     36
    .sgpr_spill_count: 0
    .symbol:         _Z9stencil3dPKdPdS0_S0_S0_iii.kd
    .uniform_work_group_size: 1
    .uses_dynamic_stack: false
    .vgpr_count:     40
    .vgpr_spill_count: 0
    .wavefront_size: 64
amdhsa.target:   amdgcn-amd-amdhsa--gfx906
amdhsa.version:
  - 1
  - 2
...

	.end_amdgpu_metadata
